;; amdgpu-corpus repo=ROCm/rocFFT kind=compiled arch=gfx1201 opt=O3
	.text
	.amdgcn_target "amdgcn-amd-amdhsa--gfx1201"
	.amdhsa_code_object_version 6
	.protected	fft_rtc_fwd_len208_factors_13_16_wgs_144_tpt_16_half_op_CI_CI_sbcc_dirReg_intrinsicRead ; -- Begin function fft_rtc_fwd_len208_factors_13_16_wgs_144_tpt_16_half_op_CI_CI_sbcc_dirReg_intrinsicRead
	.globl	fft_rtc_fwd_len208_factors_13_16_wgs_144_tpt_16_half_op_CI_CI_sbcc_dirReg_intrinsicRead
	.p2align	8
	.type	fft_rtc_fwd_len208_factors_13_16_wgs_144_tpt_16_half_op_CI_CI_sbcc_dirReg_intrinsicRead,@function
fft_rtc_fwd_len208_factors_13_16_wgs_144_tpt_16_half_op_CI_CI_sbcc_dirReg_intrinsicRead: ; @fft_rtc_fwd_len208_factors_13_16_wgs_144_tpt_16_half_op_CI_CI_sbcc_dirReg_intrinsicRead
; %bb.0:
	s_clause 0x1
	s_load_b128 s[12:15], s[0:1], 0x18
	s_load_b64 s[22:23], s[0:1], 0x28
	s_mov_b32 s3, 0
	s_mov_b32 s4, 0x71c4fc00
	s_movk_i32 s5, 0x7c
	s_mov_b32 s2, s3
	s_mov_b64 s[20:21], 0
	s_add_nc_u64 s[4:5], s[2:3], s[4:5]
	s_delay_alu instid0(SALU_CYCLE_1) | instskip(NEXT) | instid1(SALU_CYCLE_1)
	s_add_co_i32 s5, s5, 0x1c71c6a0
	s_mul_u64 s[6:7], s[4:5], -9
	s_delay_alu instid0(SALU_CYCLE_1)
	s_mul_hi_u32 s9, s4, s7
	s_mul_i32 s8, s4, s7
	s_mul_hi_u32 s2, s4, s6
	s_mul_i32 s11, s5, s6
	s_add_nc_u64 s[8:9], s[2:3], s[8:9]
	s_mul_hi_u32 s10, s5, s6
	s_mul_hi_u32 s16, s5, s7
	s_wait_kmcnt 0x0
	s_load_b64 s[26:27], s[12:13], 0x8
	s_add_co_u32 s2, s8, s11
	s_add_co_ci_u32 s2, s9, s10
	s_mul_i32 s6, s5, s7
	s_add_co_ci_u32 s7, s16, 0
	s_delay_alu instid0(SALU_CYCLE_1) | instskip(NEXT) | instid1(SALU_CYCLE_1)
	s_add_nc_u64 s[6:7], s[2:3], s[6:7]
	v_add_co_u32 v1, s2, s4, s6
	s_delay_alu instid0(VALU_DEP_1) | instskip(SKIP_1) | instid1(VALU_DEP_1)
	s_cmp_lg_u32 s2, 0
	s_add_co_ci_u32 s8, s5, s7
	v_readfirstlane_b32 s9, v1
	s_wait_kmcnt 0x0
	s_add_nc_u64 s[4:5], s[26:27], -1
	s_wait_alu 0xfffe
	s_mul_hi_u32 s7, s4, s8
	s_mul_i32 s6, s4, s8
	s_mul_hi_u32 s2, s4, s9
	s_mul_hi_u32 s11, s5, s9
	s_mul_i32 s9, s5, s9
	s_wait_alu 0xfffe
	s_add_nc_u64 s[6:7], s[2:3], s[6:7]
	s_mul_hi_u32 s10, s5, s8
	s_wait_alu 0xfffe
	s_add_co_u32 s2, s6, s9
	s_add_co_ci_u32 s2, s7, s11
	s_mul_i32 s8, s5, s8
	s_add_co_ci_u32 s9, s10, 0
	s_delay_alu instid0(SALU_CYCLE_1) | instskip(SKIP_2) | instid1(SALU_CYCLE_1)
	s_add_nc_u64 s[6:7], s[2:3], s[8:9]
	s_wait_alu 0xfffe
	s_mul_u64 s[8:9], s[6:7], 9
	v_sub_co_u32 v1, s2, s4, s8
	s_delay_alu instid0(VALU_DEP_1) | instskip(SKIP_1) | instid1(VALU_DEP_1)
	s_cmp_lg_u32 s2, 0
	s_sub_co_ci_u32 s10, s5, s9
	v_sub_co_u32 v2, s4, v1, 9
	s_delay_alu instid0(VALU_DEP_1) | instskip(SKIP_2) | instid1(VALU_DEP_2)
	s_cmp_lg_u32 s4, 0
	v_readfirstlane_b32 s11, v1
	s_sub_co_ci_u32 s8, s10, 0
	v_readfirstlane_b32 s2, v2
	s_add_nc_u64 s[4:5], s[6:7], 1
	s_delay_alu instid0(VALU_DEP_1)
	s_cmp_gt_u32 s2, 8
	s_cselect_b32 s2, -1, 0
	s_wait_alu 0xfffe
	s_cmp_eq_u32 s8, 0
	s_add_nc_u64 s[8:9], s[6:7], 2
	s_cselect_b32 s2, s2, -1
	s_delay_alu instid0(SALU_CYCLE_1)
	s_cmp_lg_u32 s2, 0
	s_wait_alu 0xfffe
	s_cselect_b32 s2, s8, s4
	s_cselect_b32 s4, s9, s5
	s_cmp_gt_u32 s11, 8
	s_cselect_b32 s5, -1, 0
	s_cmp_eq_u32 s10, 0
	s_wait_alu 0xfffe
	s_cselect_b32 s5, s5, -1
	s_wait_alu 0xfffe
	s_cmp_lg_u32 s5, 0
	s_cselect_b32 s5, s4, s7
	s_cselect_b32 s4, s2, s6
	s_mov_b32 s2, ttmp9
	s_wait_alu 0xfffe
	s_add_nc_u64 s[28:29], s[4:5], 1
	s_delay_alu instid0(SALU_CYCLE_1) | instskip(NEXT) | instid1(VALU_DEP_1)
	v_cmp_lt_u64_e64 s4, s[2:3], s[28:29]
	s_and_b32 vcc_lo, exec_lo, s4
	s_cbranch_vccnz .LBB0_2
; %bb.1:
	v_cvt_f32_u32_e32 v1, s28
	s_sub_co_i32 s5, 0, s28
	s_mov_b32 s21, s3
	s_delay_alu instid0(VALU_DEP_1) | instskip(NEXT) | instid1(TRANS32_DEP_1)
	v_rcp_iflag_f32_e32 v1, v1
	v_mul_f32_e32 v1, 0x4f7ffffe, v1
	s_delay_alu instid0(VALU_DEP_1) | instskip(NEXT) | instid1(VALU_DEP_1)
	v_cvt_u32_f32_e32 v1, v1
	v_readfirstlane_b32 s4, v1
	s_wait_alu 0xfffe
	s_delay_alu instid0(VALU_DEP_1)
	s_mul_i32 s5, s5, s4
	s_wait_alu 0xfffe
	s_mul_hi_u32 s5, s4, s5
	s_wait_alu 0xfffe
	s_add_co_i32 s4, s4, s5
	s_wait_alu 0xfffe
	s_mul_hi_u32 s4, s2, s4
	s_wait_alu 0xfffe
	s_mul_i32 s5, s4, s28
	s_add_co_i32 s6, s4, 1
	s_wait_alu 0xfffe
	s_sub_co_i32 s5, s2, s5
	s_wait_alu 0xfffe
	s_sub_co_i32 s7, s5, s28
	s_cmp_ge_u32 s5, s28
	s_cselect_b32 s4, s6, s4
	s_wait_alu 0xfffe
	s_cselect_b32 s5, s7, s5
	s_add_co_i32 s6, s4, 1
	s_wait_alu 0xfffe
	s_cmp_ge_u32 s5, s28
	s_cselect_b32 s20, s6, s4
.LBB0_2:
	s_load_b64 s[36:37], s[0:1], 0x10
	s_load_b128 s[8:11], s[14:15], 0x0
	s_load_b128 s[4:7], s[22:23], 0x0
	s_clause 0x1
	s_load_b64 s[24:25], s[0:1], 0x60
	s_load_b64 s[18:19], s[0:1], 0x0
	s_mul_u64 s[16:17], s[20:21], s[28:29]
	s_delay_alu instid0(SALU_CYCLE_1) | instskip(NEXT) | instid1(SALU_CYCLE_1)
	s_sub_nc_u64 s[16:17], s[2:3], s[16:17]
	s_mul_u64 s[34:35], s[16:17], 9
	s_wait_kmcnt 0x0
	v_cmp_lt_u64_e64 s9, s[36:37], 3
	s_mul_u64 s[30:31], s[10:11], s[34:35]
	s_mul_u64 s[16:17], s[6:7], s[34:35]
	s_delay_alu instid0(VALU_DEP_1)
	s_and_b32 vcc_lo, exec_lo, s9
	s_cbranch_vccnz .LBB0_12
; %bb.3:
	s_add_nc_u64 s[38:39], s[22:23], 16
	s_add_nc_u64 s[40:41], s[14:15], 16
	;; [unrolled: 1-line block ×3, first 2 shown]
	s_mov_b64 s[42:43], 2
	s_mov_b32 s44, 0
.LBB0_4:                                ; =>This Inner Loop Header: Depth=1
	s_load_b64 s[46:47], s[12:13], 0x0
                                        ; implicit-def: $sgpr50_sgpr51
	s_wait_kmcnt 0x0
	s_or_b64 s[48:49], s[20:21], s[46:47]
	s_delay_alu instid0(SALU_CYCLE_1)
	s_mov_b32 s45, s49
	s_mov_b32 s49, -1
	s_cmp_lg_u64 s[44:45], 0
	s_cbranch_scc0 .LBB0_6
; %bb.5:                                ;   in Loop: Header=BB0_4 Depth=1
	s_cvt_f32_u32 s9, s46
	s_cvt_f32_u32 s33, s47
	s_sub_nc_u64 s[52:53], 0, s[46:47]
	s_mov_b32 s49, 0
	s_mov_b32 s57, s44
	s_wait_alu 0xfffe
	s_fmamk_f32 s9, s33, 0x4f800000, s9
	s_wait_alu 0xfffe
	s_delay_alu instid0(SALU_CYCLE_2) | instskip(NEXT) | instid1(TRANS32_DEP_1)
	v_s_rcp_f32 s9, s9
	s_mul_f32 s9, s9, 0x5f7ffffc
	s_wait_alu 0xfffe
	s_delay_alu instid0(SALU_CYCLE_2) | instskip(NEXT) | instid1(SALU_CYCLE_3)
	s_mul_f32 s33, s9, 0x2f800000
	s_trunc_f32 s33, s33
	s_delay_alu instid0(SALU_CYCLE_3) | instskip(SKIP_2) | instid1(SALU_CYCLE_1)
	s_fmamk_f32 s9, s33, 0xcf800000, s9
	s_cvt_u32_f32 s51, s33
	s_wait_alu 0xfffe
	s_cvt_u32_f32 s50, s9
	s_wait_alu 0xfffe
	s_delay_alu instid0(SALU_CYCLE_2)
	s_mul_u64 s[54:55], s[52:53], s[50:51]
	s_wait_alu 0xfffe
	s_mul_hi_u32 s59, s50, s55
	s_mul_i32 s58, s50, s55
	s_mul_hi_u32 s48, s50, s54
	s_mul_i32 s33, s51, s54
	s_add_nc_u64 s[58:59], s[48:49], s[58:59]
	s_mul_hi_u32 s9, s51, s54
	s_mul_hi_u32 s45, s51, s55
	s_add_co_u32 s33, s58, s33
	s_wait_alu 0xfffe
	s_add_co_ci_u32 s56, s59, s9
	s_mul_i32 s54, s51, s55
	s_add_co_ci_u32 s55, s45, 0
	s_wait_alu 0xfffe
	s_add_nc_u64 s[54:55], s[56:57], s[54:55]
	s_wait_alu 0xfffe
	v_add_co_u32 v1, s9, s50, s54
	s_delay_alu instid0(VALU_DEP_1) | instskip(SKIP_1) | instid1(VALU_DEP_1)
	s_cmp_lg_u32 s9, 0
	s_add_co_ci_u32 s51, s51, s55
	v_readfirstlane_b32 s50, v1
	s_mov_b32 s55, s44
	s_wait_alu 0xfffe
	s_delay_alu instid0(VALU_DEP_1)
	s_mul_u64 s[52:53], s[52:53], s[50:51]
	s_wait_alu 0xfffe
	s_mul_hi_u32 s57, s50, s53
	s_mul_i32 s56, s50, s53
	s_mul_hi_u32 s48, s50, s52
	s_mul_i32 s33, s51, s52
	s_add_nc_u64 s[56:57], s[48:49], s[56:57]
	s_mul_hi_u32 s9, s51, s52
	s_mul_hi_u32 s45, s51, s53
	s_add_co_u32 s33, s56, s33
	s_wait_alu 0xfffe
	s_add_co_ci_u32 s54, s57, s9
	s_mul_i32 s52, s51, s53
	s_add_co_ci_u32 s53, s45, 0
	s_wait_alu 0xfffe
	s_add_nc_u64 s[52:53], s[54:55], s[52:53]
	s_wait_alu 0xfffe
	v_add_co_u32 v1, s9, v1, s52
	s_delay_alu instid0(VALU_DEP_1) | instskip(SKIP_1) | instid1(VALU_DEP_1)
	s_cmp_lg_u32 s9, 0
	s_add_co_ci_u32 s9, s51, s53
	v_readfirstlane_b32 s33, v1
	s_wait_alu 0xfffe
	s_mul_hi_u32 s51, s20, s9
	s_mul_i32 s50, s20, s9
	s_mul_hi_u32 s45, s21, s9
	s_mul_i32 s52, s21, s9
	;; [unrolled: 2-line block ×3, first 2 shown]
	s_wait_alu 0xfffe
	s_add_nc_u64 s[50:51], s[48:49], s[50:51]
	s_mul_hi_u32 s33, s21, s33
	s_wait_alu 0xfffe
	s_add_co_u32 s9, s50, s9
	s_add_co_ci_u32 s54, s51, s33
	s_add_co_ci_u32 s53, s45, 0
	s_wait_alu 0xfffe
	s_add_nc_u64 s[50:51], s[54:55], s[52:53]
	s_wait_alu 0xfffe
	s_mul_u64 s[52:53], s[46:47], s[50:51]
	s_add_nc_u64 s[54:55], s[50:51], 1
	s_wait_alu 0xfffe
	v_sub_co_u32 v1, s9, s20, s52
	s_sub_co_i32 s33, s21, s53
	s_cmp_lg_u32 s9, 0
	s_add_nc_u64 s[56:57], s[50:51], 2
	s_delay_alu instid0(VALU_DEP_1) | instskip(SKIP_2) | instid1(VALU_DEP_1)
	v_sub_co_u32 v2, s45, v1, s46
	s_sub_co_ci_u32 s33, s33, s47
	s_cmp_lg_u32 s45, 0
	v_readfirstlane_b32 s45, v2
	s_sub_co_ci_u32 s33, s33, 0
	s_delay_alu instid0(SALU_CYCLE_1) | instskip(SKIP_1) | instid1(VALU_DEP_1)
	s_cmp_ge_u32 s33, s47
	s_cselect_b32 s48, -1, 0
	s_cmp_ge_u32 s45, s46
	s_cselect_b32 s45, -1, 0
	s_cmp_eq_u32 s33, s47
	s_cselect_b32 s33, s45, s48
	s_delay_alu instid0(SALU_CYCLE_1)
	s_cmp_lg_u32 s33, 0
	s_cselect_b32 s33, s56, s54
	s_cselect_b32 s45, s57, s55
	s_cmp_lg_u32 s9, 0
	v_readfirstlane_b32 s9, v1
	s_sub_co_ci_u32 s48, s21, s53
	s_delay_alu instid0(SALU_CYCLE_1) | instskip(SKIP_1) | instid1(VALU_DEP_1)
	s_cmp_ge_u32 s48, s47
	s_cselect_b32 s52, -1, 0
	s_cmp_ge_u32 s9, s46
	s_cselect_b32 s9, -1, 0
	s_cmp_eq_u32 s48, s47
	s_wait_alu 0xfffe
	s_cselect_b32 s9, s9, s52
	s_wait_alu 0xfffe
	s_cmp_lg_u32 s9, 0
	s_cselect_b32 s51, s45, s51
	s_cselect_b32 s50, s33, s50
.LBB0_6:                                ;   in Loop: Header=BB0_4 Depth=1
	s_and_not1_b32 vcc_lo, exec_lo, s49
	s_cbranch_vccnz .LBB0_8
; %bb.7:                                ;   in Loop: Header=BB0_4 Depth=1
	v_cvt_f32_u32_e32 v1, s46
	s_sub_co_i32 s33, 0, s46
	s_mov_b32 s51, s44
	s_delay_alu instid0(VALU_DEP_1) | instskip(NEXT) | instid1(TRANS32_DEP_1)
	v_rcp_iflag_f32_e32 v1, v1
	v_mul_f32_e32 v1, 0x4f7ffffe, v1
	s_delay_alu instid0(VALU_DEP_1) | instskip(NEXT) | instid1(VALU_DEP_1)
	v_cvt_u32_f32_e32 v1, v1
	v_readfirstlane_b32 s9, v1
	s_delay_alu instid0(VALU_DEP_1) | instskip(NEXT) | instid1(SALU_CYCLE_1)
	s_mul_i32 s33, s33, s9
	s_mul_hi_u32 s33, s9, s33
	s_delay_alu instid0(SALU_CYCLE_1)
	s_add_co_i32 s9, s9, s33
	s_wait_alu 0xfffe
	s_mul_hi_u32 s9, s20, s9
	s_wait_alu 0xfffe
	s_mul_i32 s33, s9, s46
	s_add_co_i32 s45, s9, 1
	s_sub_co_i32 s33, s20, s33
	s_delay_alu instid0(SALU_CYCLE_1)
	s_sub_co_i32 s48, s33, s46
	s_cmp_ge_u32 s33, s46
	s_cselect_b32 s9, s45, s9
	s_cselect_b32 s33, s48, s33
	s_wait_alu 0xfffe
	s_add_co_i32 s45, s9, 1
	s_cmp_ge_u32 s33, s46
	s_cselect_b32 s50, s45, s9
.LBB0_8:                                ;   in Loop: Header=BB0_4 Depth=1
	s_load_b64 s[48:49], s[40:41], 0x0
	s_load_b64 s[52:53], s[38:39], 0x0
	s_add_nc_u64 s[42:43], s[42:43], 1
	s_mul_u64 s[28:29], s[46:47], s[28:29]
	s_wait_alu 0xfffe
	v_cmp_ge_u64_e64 s9, s[42:43], s[36:37]
	s_mul_u64 s[46:47], s[50:51], s[46:47]
	s_add_nc_u64 s[38:39], s[38:39], 8
	s_wait_alu 0xfffe
	s_sub_nc_u64 s[20:21], s[20:21], s[46:47]
	s_add_nc_u64 s[40:41], s[40:41], 8
	s_add_nc_u64 s[12:13], s[12:13], 8
	s_and_b32 vcc_lo, exec_lo, s9
	s_wait_kmcnt 0x0
	s_wait_alu 0xfffe
	s_mul_u64 s[46:47], s[48:49], s[20:21]
	s_mul_u64 s[20:21], s[52:53], s[20:21]
	s_wait_alu 0xfffe
	s_add_nc_u64 s[30:31], s[46:47], s[30:31]
	s_add_nc_u64 s[16:17], s[20:21], s[16:17]
	s_cbranch_vccnz .LBB0_10
; %bb.9:                                ;   in Loop: Header=BB0_4 Depth=1
	s_mov_b64 s[20:21], s[50:51]
	s_branch .LBB0_4
.LBB0_10:
	v_cmp_lt_u64_e64 s3, s[2:3], s[28:29]
	s_mov_b64 s[20:21], 0
	s_delay_alu instid0(VALU_DEP_1)
	s_and_b32 vcc_lo, exec_lo, s3
	s_cbranch_vccnz .LBB0_12
; %bb.11:
	v_cvt_f32_u32_e32 v1, s28
	s_sub_co_i32 s9, 0, s28
	s_mov_b32 s21, 0
	s_delay_alu instid0(VALU_DEP_1) | instskip(NEXT) | instid1(TRANS32_DEP_1)
	v_rcp_iflag_f32_e32 v1, v1
	v_mul_f32_e32 v1, 0x4f7ffffe, v1
	s_delay_alu instid0(VALU_DEP_1) | instskip(NEXT) | instid1(VALU_DEP_1)
	v_cvt_u32_f32_e32 v1, v1
	v_readfirstlane_b32 s3, v1
	s_wait_alu 0xfffe
	s_delay_alu instid0(VALU_DEP_1)
	s_mul_i32 s9, s9, s3
	s_wait_alu 0xfffe
	s_mul_hi_u32 s9, s3, s9
	s_wait_alu 0xfffe
	s_add_co_i32 s3, s3, s9
	s_wait_alu 0xfffe
	s_mul_hi_u32 s3, s2, s3
	s_wait_alu 0xfffe
	s_mul_i32 s9, s3, s28
	s_wait_alu 0xfffe
	s_sub_co_i32 s2, s2, s9
	s_add_co_i32 s9, s3, 1
	s_wait_alu 0xfffe
	s_sub_co_i32 s12, s2, s28
	s_cmp_ge_u32 s2, s28
	s_cselect_b32 s3, s9, s3
	s_cselect_b32 s2, s12, s2
	s_wait_alu 0xfffe
	s_add_co_i32 s9, s3, 1
	s_cmp_ge_u32 s2, s28
	s_wait_alu 0xfffe
	s_cselect_b32 s20, s9, s3
.LBB0_12:
	v_mul_u32_u24_e32 v1, 0x1c72, v0
	s_lshl_b64 s[12:13], s[36:37], 3
	s_load_b64 s[2:3], s[0:1], 0x68
	s_add_nc_u64 s[0:1], s[14:15], s[12:13]
	s_add_nc_u64 s[14:15], s[34:35], 9
	v_lshrrev_b32_e32 v17, 16, v1
	s_load_b64 s[0:1], s[0:1], 0x0
	v_cmp_le_u64_e64 s14, s[14:15], s[26:27]
	s_delay_alu instid0(VALU_DEP_2) | instskip(NEXT) | instid1(VALU_DEP_1)
	v_mul_lo_u16 v1, v17, 9
	v_sub_nc_u16 v1, v0, v1
	s_delay_alu instid0(VALU_DEP_1) | instskip(NEXT) | instid1(VALU_DEP_1)
	v_and_b32_e32 v18, 0xffff, v1
	v_add_co_u32 v3, s9, s34, v18
	v_mad_co_u64_u32 v[1:2], null, s10, v18, 0
	s_wait_alu 0xf1ff
	v_add_co_ci_u32_e64 v4, null, s35, 0, s9
	s_wait_kmcnt 0x0
	s_mul_u64 s[0:1], s[0:1], s[20:21]
	s_delay_alu instid0(VALU_DEP_1) | instskip(NEXT) | instid1(VALU_DEP_3)
	v_cmp_gt_u64_e32 vcc_lo, s[26:27], v[3:4]
	v_mad_co_u64_u32 v[5:6], null, s11, v18, v[2:3]
	v_dual_mov_b32 v3, 0 :: v_dual_mov_b32 v2, 0
	s_add_nc_u64 s[10:11], s[0:1], s[30:31]
	s_or_b32 s1, s14, vcc_lo
	s_delay_alu instid0(SALU_CYCLE_1)
	s_and_saveexec_b32 s9, s1
	s_cbranch_execz .LBB0_14
; %bb.13:
	v_mul_lo_u32 v2, s8, v17
	v_mov_b32_e32 v5, 0
	s_wait_alu 0xfffe
	s_delay_alu instid0(VALU_DEP_2) | instskip(NEXT) | instid1(VALU_DEP_1)
	v_add3_u32 v4, s10, v1, v2
	v_lshlrev_b64_e32 v[4:5], 2, v[4:5]
	s_delay_alu instid0(VALU_DEP_1) | instskip(NEXT) | instid1(VALU_DEP_1)
	v_add_co_u32 v4, s0, s24, v4
	v_add_co_ci_u32_e64 v5, s0, s25, v5, s0
	global_load_b32 v2, v[4:5], off
.LBB0_14:
	s_wait_alu 0xfffe
	s_or_b32 exec_lo, exec_lo, s9
	v_and_b32_e32 v19, 0xffff, v17
	s_and_saveexec_b32 s9, s1
	s_cbranch_execz .LBB0_16
; %bb.15:
	s_delay_alu instid0(VALU_DEP_1) | instskip(NEXT) | instid1(VALU_DEP_1)
	v_dual_mov_b32 v4, 0 :: v_dual_add_nc_u32 v3, 16, v19
	v_mul_lo_u32 v3, s8, v3
	s_delay_alu instid0(VALU_DEP_1) | instskip(NEXT) | instid1(VALU_DEP_1)
	v_add3_u32 v3, s10, v1, v3
	v_lshlrev_b64_e32 v[3:4], 2, v[3:4]
	s_delay_alu instid0(VALU_DEP_1) | instskip(SKIP_1) | instid1(VALU_DEP_2)
	v_add_co_u32 v3, s0, s24, v3
	s_wait_alu 0xf1ff
	v_add_co_ci_u32_e64 v4, s0, s25, v4, s0
	global_load_b32 v3, v[3:4], off
.LBB0_16:
	s_wait_alu 0xfffe
	s_or_b32 exec_lo, exec_lo, s9
	v_dual_mov_b32 v4, 0 :: v_dual_mov_b32 v5, 0
	s_and_saveexec_b32 s9, s1
	s_cbranch_execz .LBB0_18
; %bb.17:
	v_or_b32_e32 v5, 32, v19
	v_mov_b32_e32 v6, 0
	s_delay_alu instid0(VALU_DEP_2) | instskip(NEXT) | instid1(VALU_DEP_1)
	v_mul_lo_u32 v5, s8, v5
	v_add3_u32 v5, s10, v1, v5
	s_delay_alu instid0(VALU_DEP_1) | instskip(NEXT) | instid1(VALU_DEP_1)
	v_lshlrev_b64_e32 v[5:6], 2, v[5:6]
	v_add_co_u32 v5, s0, s24, v5
	s_wait_alu 0xf1ff
	s_delay_alu instid0(VALU_DEP_2)
	v_add_co_ci_u32_e64 v6, s0, s25, v6, s0
	global_load_b32 v5, v[5:6], off
.LBB0_18:
	s_wait_alu 0xfffe
	s_or_b32 exec_lo, exec_lo, s9
	s_and_saveexec_b32 s9, s1
	s_cbranch_execz .LBB0_20
; %bb.19:
	v_dual_mov_b32 v7, 0 :: v_dual_add_nc_u32 v4, 48, v19
	s_delay_alu instid0(VALU_DEP_1) | instskip(NEXT) | instid1(VALU_DEP_1)
	v_mul_lo_u32 v4, s8, v4
	v_add3_u32 v6, s10, v1, v4
	s_delay_alu instid0(VALU_DEP_1) | instskip(NEXT) | instid1(VALU_DEP_1)
	v_lshlrev_b64_e32 v[6:7], 2, v[6:7]
	v_add_co_u32 v6, s0, s24, v6
	s_wait_alu 0xf1ff
	s_delay_alu instid0(VALU_DEP_2)
	v_add_co_ci_u32_e64 v7, s0, s25, v7, s0
	global_load_b32 v4, v[6:7], off
.LBB0_20:
	s_wait_alu 0xfffe
	s_or_b32 exec_lo, exec_lo, s9
	v_dual_mov_b32 v6, 0 :: v_dual_mov_b32 v7, 0
	s_and_saveexec_b32 s9, s1
	s_cbranch_execz .LBB0_22
; %bb.21:
	v_or_b32_e32 v7, 64, v19
	v_mov_b32_e32 v8, 0
	s_delay_alu instid0(VALU_DEP_2) | instskip(NEXT) | instid1(VALU_DEP_1)
	v_mul_lo_u32 v7, s8, v7
	v_add3_u32 v7, s10, v1, v7
	s_delay_alu instid0(VALU_DEP_1) | instskip(NEXT) | instid1(VALU_DEP_1)
	v_lshlrev_b64_e32 v[7:8], 2, v[7:8]
	v_add_co_u32 v7, s0, s24, v7
	s_wait_alu 0xf1ff
	s_delay_alu instid0(VALU_DEP_2)
	v_add_co_ci_u32_e64 v8, s0, s25, v8, s0
	global_load_b32 v7, v[7:8], off
.LBB0_22:
	s_wait_alu 0xfffe
	s_or_b32 exec_lo, exec_lo, s9
	s_and_saveexec_b32 s9, s1
	s_cbranch_execz .LBB0_24
; %bb.23:
	v_dual_mov_b32 v9, 0 :: v_dual_add_nc_u32 v6, 0x50, v19
	s_delay_alu instid0(VALU_DEP_1) | instskip(NEXT) | instid1(VALU_DEP_1)
	v_mul_lo_u32 v6, s8, v6
	v_add3_u32 v8, s10, v1, v6
	s_delay_alu instid0(VALU_DEP_1) | instskip(NEXT) | instid1(VALU_DEP_1)
	v_lshlrev_b64_e32 v[8:9], 2, v[8:9]
	v_add_co_u32 v8, s0, s24, v8
	s_wait_alu 0xf1ff
	s_delay_alu instid0(VALU_DEP_2)
	v_add_co_ci_u32_e64 v9, s0, s25, v9, s0
	global_load_b32 v6, v[8:9], off
.LBB0_24:
	;; [unrolled: 36-line block ×5, first 2 shown]
	s_wait_alu 0xfffe
	s_or_b32 exec_lo, exec_lo, s9
	v_mov_b32_e32 v14, 0
	s_add_nc_u64 s[12:13], s[22:23], s[12:13]
	s_and_saveexec_b32 s9, s1
	s_cbranch_execz .LBB0_38
; %bb.37:
	v_or_b32_e32 v14, 0xc0, v19
	v_mov_b32_e32 v15, 0
	s_delay_alu instid0(VALU_DEP_2) | instskip(NEXT) | instid1(VALU_DEP_1)
	v_mul_lo_u32 v14, s8, v14
	v_add3_u32 v14, s10, v1, v14
	s_delay_alu instid0(VALU_DEP_1) | instskip(NEXT) | instid1(VALU_DEP_1)
	v_lshlrev_b64_e32 v[14:15], 2, v[14:15]
	v_add_co_u32 v14, s0, s24, v14
	s_wait_alu 0xf1ff
	s_delay_alu instid0(VALU_DEP_2)
	v_add_co_ci_u32_e64 v15, s0, s25, v15, s0
	global_load_b32 v14, v[14:15], off
.LBB0_38:
	s_wait_alu 0xfffe
	s_or_b32 exec_lo, exec_lo, s9
	s_wait_loadcnt 0x0
	v_pk_add_f16 v65, v2, v3
	v_lshrrev_b32_e32 v30, 16, v5
	v_pk_add_f16 v21, v5, v12 op_sel:[1,1] op_sel_hi:[0,0] neg_lo:[0,1] neg_hi:[0,1]
	v_add_f16_e32 v25, v5, v12
	v_lshrrev_b32_e32 v28, 16, v4
	v_lshrrev_b32_e32 v70, 16, v65
	v_pk_add_f16 v39, v5, v12 op_sel:[1,1] op_sel_hi:[0,0]
	v_add_f16_e32 v5, v65, v5
	v_lshrrev_b32_e32 v27, 16, v7
	v_pk_add_f16 v48, v4, v13 op_sel:[1,1] op_sel_hi:[0,0] neg_lo:[0,1] neg_hi:[0,1]
	v_add_f16_e32 v30, v70, v30
	v_add_f16_e32 v51, v4, v13
	v_pk_add_f16 v62, v4, v13 op_sel:[1,1] op_sel_hi:[0,0]
	v_add_f16_e32 v4, v5, v4
	v_lshrrev_b32_e32 v24, 16, v6
	v_add_f16_e32 v28, v30, v28
	v_lshrrev_b32_e32 v23, 16, v9
	v_lshrrev_b32_e32 v59, 16, v48
	v_add_f16_e32 v4, v4, v7
	v_bfi_b32 v66, 0xffff, v62, v48
	v_add_f16_e32 v27, v28, v27
	v_lshrrev_b32_e32 v22, 16, v8
	v_mul_f16_e32 v69, 0x3b7b, v59
	v_add_f16_e32 v4, v4, v6
	v_pk_mul_f16 v66, 0xba95388b, v66
	v_add_f16_e32 v24, v27, v24
	v_lshrrev_b32_e32 v20, 16, v10
	v_fmamk_f16 v72, v62, 0xb5ac, v69
	v_add_f16_e32 v4, v4, v9
	v_fma_f16 v30, v62, 0xb5ac, -v69
	v_add_f16_e32 v23, v24, v23
	v_lshrrev_b32_e32 v69, 16, v66
	v_lshrrev_b32_e32 v16, 16, v11
	v_add_f16_e32 v4, v4, v8
	v_mul_f16_e32 v63, 0xbbf1, v59
	v_add_f16_e32 v22, v23, v22
	v_mul_f16_e32 v67, 0xb3a8, v59
	v_mul_f16_e32 v28, 0x3770, v59
	v_add_f16_e32 v59, v69, v66
	v_sub_f16_e32 v27, v66, v69
	v_pk_add_f16 v69, v6, v10 op_sel:[1,1] op_sel_hi:[0,0] neg_lo:[0,1] neg_hi:[0,1]
	v_pk_add_f16 v24, v6, v10 op_sel:[1,1] op_sel_hi:[0,0]
	v_add_f16_e32 v20, v22, v20
	v_add_f16_e32 v4, v4, v10
	v_lshrrev_b32_e32 v15, 16, v13
	v_lshrrev_b32_e32 v1, 16, v12
	v_bfi_b32 v23, 0xffff, v24, v69
	v_add_f16_e32 v16, v20, v16
	v_add_f16_e32 v4, v4, v11
	v_pk_add_f16 v70, v7, v11 op_sel:[1,1] op_sel_hi:[0,0] neg_lo:[0,1] neg_hi:[0,1]
	v_pk_add_f16 v65, v7, v11 op_sel:[1,1] op_sel_hi:[0,0]
	v_add_f16_e32 v7, v7, v11
	v_pk_add_f16 v74, v9, v8 op_sel:[1,1] op_sel_hi:[0,0] neg_lo:[0,1] neg_hi:[0,1]
	v_pk_add_f16 v75, v9, v8 op_sel:[1,1] op_sel_hi:[0,0]
	v_pk_mul_f16 v22, 0x37703b15, v23
	v_add_f16_e32 v11, v16, v15
	v_add_f16_e32 v4, v4, v13
	v_bfi_b32 v5, 0xffff, v65, v70
	v_bfi_b32 v23, 0xffff, v75, v74
	v_lshrrev_b32_e32 v20, 16, v22
	v_add_f16_e32 v1, v11, v1
	v_lshrrev_b32_e32 v11, 16, v14
	v_add_f16_e32 v4, v4, v12
	v_add_f16_e32 v6, v6, v10
	v_pk_mul_f16 v10, 0xbb7bb5ac, v23
	v_add_f16_e32 v15, v20, v22
	v_sub_f16_e32 v13, v22, v20
	v_pk_add_f16 v12, v3, v14 neg_lo:[0,1] neg_hi:[0,1]
	v_add_f16_e32 v20, v1, v11
	v_add_f16_e32 v1, v4, v14
	v_bfi_b32 v43, 0xffff, v39, v21
	v_pk_mul_f16 v5, 0x33a8bbc4, v5
	v_lshrrev_b32_e32 v16, 16, v10
	v_add_f16_e32 v22, v9, v8
	v_lshrrev_b32_e32 v4, 16, v12
	v_pk_add_f16 v3, v3, v14
	v_lshlrev_b32_e32 v8, 16, v20
	v_and_b32_e32 v9, 0xffff, v1
	v_mul_f16_e32 v26, 0xba95, v21
	v_mul_f16_e32 v29, 0xbb7b, v21
	;; [unrolled: 1-line block ×5, first 2 shown]
	v_pk_mul_f16 v43, 0x3bf12fb7, v43
	v_lshrrev_b32_e32 v66, 16, v5
	v_add_f16_e32 v23, v16, v10
	v_sub_f16_e32 v14, v10, v16
	v_mul_f16_e32 v10, 0xb770, v4
	v_lshrrev_b32_e32 v11, 16, v3
	v_or_b32_e32 v76, v8, v9
	v_mul_f16_e32 v9, 0xba95, v4
	v_mul_f16_e32 v80, 0xbbf1, v4
	;; [unrolled: 1-line block ×5, first 2 shown]
	v_fma_f16 v31, v25, 0x388b, -v26
	v_fmac_f16_e32 v26, 0x388b, v25
	v_fma_f16 v33, v25, 0xb5ac, -v29
	v_fmac_f16_e32 v29, 0xb5ac, v25
	v_fma_f16 v35, v25, 0xbbc4, -v32
	v_lshrrev_b32_e32 v36, 16, v21
	v_fmac_f16_e32 v32, 0xbbc4, v25
	v_fma_f16 v38, v25, 0xb9fd, -v34
	v_fmac_f16_e32 v34, 0xb9fd, v25
	v_fma_f16 v41, v25, 0x2fb7, -v37
	v_lshrrev_b32_e32 v49, 16, v43
	v_fmac_f16_e32 v37, 0x2fb7, v25
	v_add_f16_e32 v73, v66, v5
	v_sub_f16_e32 v5, v5, v66
	v_mul_f16_e32 v16, 0xb770, v12
	v_lshrrev_b32_e32 v66, 16, v2
	v_fma_f16 v8, v3, 0x3b15, -v10
	v_mul_f16_e32 v78, 0xba95, v12
	v_fmac_f16_e32 v10, 0x3b15, v3
	v_fma_f16 v79, v3, 0x388b, -v9
	v_fmac_f16_e32 v9, 0x388b, v3
	v_mul_f16_e32 v82, 0xbbf1, v12
	v_fma_f16 v83, v3, 0x2fb7, -v80
	v_mul_f16_e32 v85, 0xbb7b, v12
	v_fmac_f16_e32 v80, 0x2fb7, v3
	v_fma_f16 v87, v3, 0xb5ac, -v84
	v_pk_mul_f16 v12, 0xb3a8, v12 op_sel_hi:[0,1]
	v_fma_f16 v90, v3, 0xb9fd, -v4
	v_fmamk_f16 v91, v11, 0xb9fd, v89
	v_fmac_f16_e32 v4, 0xb9fd, v3
	v_bfi_b32 v25, 0xffff, v25, v21
	v_mul_f16_e32 v40, 0xba95, v36
	v_mul_f16_e32 v42, 0xbb7b, v36
	;; [unrolled: 1-line block ×5, first 2 shown]
	v_add_f16_e32 v53, v49, v43
	v_mul_f16_e32 v54, 0xb3a8, v48
	v_mul_f16_e32 v55, 0x3b7b, v48
	;; [unrolled: 1-line block ×4, first 2 shown]
	v_fmamk_f16 v77, v11, 0x3b15, v16
	v_fma_f16 v16, v11, 0x3b15, -v16
	v_fmamk_f16 v81, v11, 0x388b, v78
	v_fma_f16 v78, v11, 0x388b, -v78
	;; [unrolled: 2-line block ×3, first 2 shown]
	v_fmamk_f16 v88, v11, 0xb5ac, v85
	v_fmac_f16_e32 v84, 0xb5ac, v3
	v_fma_f16 v85, v11, 0xb5ac, -v85
	v_fma_f16 v11, v11, 0xb9fd, -v89
	v_pk_fma_f16 v89, 0xbbc4, v3, v12 op_sel:[0,0,1] op_sel_hi:[0,1,0] neg_lo:[0,0,1] neg_hi:[0,0,1]
	v_pk_fma_f16 v3, 0xbbc4, v3, v12 op_sel:[0,0,1] op_sel_hi:[0,1,0]
	v_add_f16_e32 v8, v8, v2
	v_add_f16_e32 v10, v10, v2
	;; [unrolled: 1-line block ×10, first 2 shown]
	v_pack_b32_f16 v21, v21, v39
	v_pk_mul_f16 v25, 0x37703b15, v25
	v_fmamk_f16 v44, v39, 0x388b, v40
	v_fma_f16 v40, v39, 0x388b, -v40
	v_fmamk_f16 v46, v39, 0xb5ac, v42
	v_fma_f16 v42, v39, 0xb5ac, -v42
	v_fmamk_f16 v47, v39, 0xbbc4, v45
	v_fmamk_f16 v50, v39, 0xb9fd, v36
	v_fma_f16 v36, v39, 0xb9fd, -v36
	v_sub_f16_e32 v43, v43, v49
	v_fma_f16 v49, v51, 0x2fb7, -v52
	v_fmac_f16_e32 v52, 0x2fb7, v51
	v_fma_f16 v56, v51, 0xbbc4, -v54
	v_fmac_f16_e32 v54, 0xbbc4, v51
	;; [unrolled: 2-line block ×4, first 2 shown]
	v_fma_f16 v64, v51, 0x388b, -v60
	v_mul_f16_e32 v12, 0xbb7b, v70
	v_add_f16_e32 v77, v77, v66
	v_add_f16_e32 v16, v16, v66
	;; [unrolled: 1-line block ×10, first 2 shown]
	v_bfi_b32 v66, 0xffff, v3, v89
	v_pk_add_f16 v89, v89, v2
	v_fmac_f16_e32 v60, 0x388b, v51
	v_add_f16_e32 v8, v31, v8
	v_add_f16_e32 v10, v26, v10
	v_mul_f16_e32 v26, 0x394e, v70
	v_add_f16_e32 v33, v33, v79
	v_mul_f16_e32 v79, 0x3770, v70
	v_add_f16_e32 v9, v29, v9
	v_add_f16_e32 v35, v35, v83
	;; [unrolled: 1-line block ×3, first 2 shown]
	v_mul_f16_e32 v80, 0xbbf1, v70
	v_add_f16_e32 v38, v38, v87
	v_lshrrev_b32_e32 v87, 16, v70
	v_add_f16_e32 v41, v41, v90
	v_mul_f16_e32 v90, 0x33a8, v70
	v_add_f16_e32 v53, v53, v91
	v_add_f16_e32 v4, v37, v4
	v_pk_fma_f16 v37, 0x3b153770, v21, v25 neg_lo:[0,1,0] neg_hi:[0,1,0]
	v_pk_fma_f16 v91, 0x3b153770, v21, v25
	v_pk_fma_f16 v21, 0x3b153770, v21, v25 neg_lo:[0,0,1] neg_hi:[0,0,1]
	v_bfi_b32 v51, 0xffff, v51, v48
	v_fma_f16 v45, v39, 0xbbc4, -v45
	v_fmamk_f16 v68, v62, 0x2fb7, v63
	v_fma_f16 v63, v62, 0x2fb7, -v63
	v_fmamk_f16 v71, v62, 0xbbc4, v67
	v_fma_f16 v67, v62, 0xbbc4, -v67
	v_pk_add_f16 v3, v3, v2
	v_pk_add_f16 v2, v66, v2
	v_fma_f16 v31, v7, 0xb5ac, -v12
	v_fmac_f16_e32 v12, 0xb5ac, v7
	v_fma_f16 v29, v7, 0xb9fd, -v26
	v_fmac_f16_e32 v26, 0xb9fd, v7
	;; [unrolled: 2-line block ×3, first 2 shown]
	v_add_f16_e32 v34, v34, v84
	v_fma_f16 v84, v7, 0x2fb7, -v80
	v_add_f16_e32 v44, v44, v77
	v_mul_f16_e32 v77, 0xbb7b, v87
	v_fmac_f16_e32 v80, 0x2fb7, v7
	v_add_f16_e32 v16, v40, v16
	v_fma_f16 v40, v7, 0xbbc4, -v90
	v_add_f16_e32 v46, v46, v81
	v_add_f16_e32 v42, v42, v78
	v_mul_f16_e32 v78, 0x394e, v87
	v_add_f16_e32 v47, v47, v86
	v_mul_f16_e32 v86, 0x3770, v87
	v_fmac_f16_e32 v90, 0xbbc4, v7
	v_add_f16_e32 v36, v36, v85
	v_mul_f16_e32 v85, 0xb94e, v69
	v_add_f16_e32 v11, v43, v11
	v_mul_f16_e32 v43, 0x3bf1, v69
	v_pk_add_f16 v37, v37, v89
	v_bfi_b32 v21, 0xffff, v91, v21
	v_mul_f16_e32 v89, 0xba95, v69
	v_add_f16_e32 v8, v49, v8
	v_mul_f16_e32 v49, 0x33a8, v69
	v_add_f16_e32 v10, v52, v10
	v_lshrrev_b32_e32 v52, 16, v69
	v_add_f16_e32 v33, v56, v33
	v_add_f16_e32 v9, v54, v9
	v_mul_f16_e32 v54, 0x3770, v69
	v_add_f16_e32 v35, v58, v35
	v_add_f16_e32 v38, v61, v38
	;; [unrolled: 1-line block ×3, first 2 shown]
	v_pack_b32_f16 v48, v48, v62
	v_pk_mul_f16 v51, 0xb94eb9fd, v51
	v_bfi_b32 v7, 0xffff, v7, v70
	v_fmamk_f16 v66, v62, 0x3b15, v28
	v_fmamk_f16 v81, v65, 0xb5ac, v77
	v_fma_f16 v77, v65, 0xb5ac, -v77
	v_add_f16_e32 v45, v45, v82
	v_fmamk_f16 v82, v65, 0xb9fd, v78
	v_fma_f16 v78, v65, 0xb9fd, -v78
	v_mul_f16_e32 v87, 0xbbf1, v87
	v_add_f16_e32 v50, v50, v88
	v_fmamk_f16 v88, v65, 0x3b15, v86
	v_fma_f16 v25, v6, 0xb9fd, -v85
	v_fmac_f16_e32 v85, 0xb9fd, v6
	v_pk_add_f16 v3, v91, v3
	v_fma_f16 v91, v6, 0x2fb7, -v43
	v_fmac_f16_e32 v43, 0x2fb7, v6
	v_pk_add_f16 v2, v21, v2
	v_fma_f16 v21, v6, 0x388b, -v89
	v_fmac_f16_e32 v89, 0x388b, v6
	v_fma_f16 v56, v6, 0xbbc4, -v49
	v_mul_f16_e32 v58, 0xb94e, v52
	v_fmac_f16_e32 v49, 0xbbc4, v6
	v_add_f16_e32 v32, v55, v32
	v_fma_f16 v55, v6, 0x3b15, -v54
	v_add_f16_e32 v34, v57, v34
	v_mul_f16_e32 v57, 0x3bf1, v52
	v_add_f16_e32 v44, v68, v44
	v_add_f16_e32 v16, v63, v16
	;; [unrolled: 1-line block ×4, first 2 shown]
	v_fmac_f16_e32 v54, 0x3b15, v6
	v_add_f16_e32 v47, v72, v47
	v_add_f16_e32 v53, v59, v53
	;; [unrolled: 1-line block ×3, first 2 shown]
	v_pk_fma_f16 v4, 0xb9fdb94e, v48, v51
	v_pk_fma_f16 v60, 0xb9fdb94e, v48, v51 neg_lo:[0,0,1] neg_hi:[0,0,1]
	v_pk_fma_f16 v48, 0xb9fdb94e, v48, v51 neg_lo:[0,1,0] neg_hi:[0,1,0]
	v_add_f16_e32 v11, v27, v11
	v_lshrrev_b32_e32 v27, 16, v74
	v_add_f16_e32 v10, v12, v10
	v_add_f16_e32 v12, v29, v33
	;; [unrolled: 1-line block ×6, first 2 shown]
	v_pack_b32_f16 v41, v70, v65
	v_pk_mul_f16 v7, 0x3a95388b, v7
	v_bfi_b32 v6, 0xffff, v6, v69
	v_fma_f16 v86, v65, 0x3b15, -v86
	v_fmamk_f16 v39, v65, 0x2fb7, v87
	v_fma_f16 v87, v65, 0x2fb7, -v87
	v_fmamk_f16 v61, v24, 0xb9fd, v58
	;; [unrolled: 2-line block ×3, first 2 shown]
	v_fma_f16 v57, v24, 0x2fb7, -v57
	v_mul_f16_e32 v71, 0xb3a8, v74
	v_add_f16_e32 v50, v66, v50
	v_mul_f16_e32 v66, 0xb94e, v74
	v_bfi_b32 v60, 0xffff, v4, v60
	v_pk_add_f16 v37, v48, v37
	v_pk_add_f16 v3, v4, v3
	v_mul_f16_e32 v4, 0xb3a8, v27
	v_add_f16_e32 v8, v31, v8
	v_add_f16_e32 v32, v79, v32
	v_add_f16_e32 v34, v80, v34
	v_add_f16_e32 v40, v81, v44
	v_add_f16_e32 v16, v77, v16
	v_add_f16_e32 v44, v82, v46
	v_add_f16_e32 v42, v78, v42
	v_add_f16_e32 v46, v88, v47
	v_pk_fma_f16 v47, 0x388b3a95, v41, v7
	v_pk_fma_f16 v65, 0x388b3a95, v41, v7 neg_lo:[0,0,1] neg_hi:[0,0,1]
	v_pk_fma_f16 v7, 0x388b3a95, v41, v7 neg_lo:[0,1,0] neg_hi:[0,1,0]
	v_add_f16_e32 v5, v5, v11
	v_add_f16_e32 v11, v91, v12
	;; [unrolled: 1-line block ×3, first 2 shown]
	v_pack_b32_f16 v9, v69, v24
	v_pk_mul_f16 v6, 0xbb7bb5ac, v6
	v_fma_f16 v28, v62, 0x3b15, -v28
	v_mul_f16_e32 v64, 0xba95, v52
	v_fma_f16 v72, v22, 0xbbc4, -v71
	v_fmac_f16_e32 v71, 0xbbc4, v22
	v_fma_f16 v62, v22, 0xb9fd, -v66
	v_pk_add_f16 v2, v60, v2
	v_fmamk_f16 v60, v75, 0xbbc4, v4
	v_fma_f16 v33, v75, 0xbbc4, -v4
	v_add_f16_e32 v41, v73, v53
	v_pk_add_f16 v7, v7, v37
	v_pk_add_f16 v3, v47, v3
	v_add_f16_e32 v8, v25, v8
	v_add_f16_e32 v10, v85, v10
	;; [unrolled: 1-line block ×10, first 2 shown]
	v_pk_fma_f16 v37, 0xb5acbb7b, v9, v6
	v_pk_fma_f16 v42, 0xb5acbb7b, v9, v6 neg_lo:[0,0,1] neg_hi:[0,0,1]
	v_add_f16_e32 v13, v13, v5
	v_bfi_b32 v5, 0xffff, v22, v74
	v_fmamk_f16 v63, v24, 0x388b, v64
	v_mul_f16_e32 v52, 0x33a8, v52
	v_add_f16_e32 v30, v30, v45
	v_mul_f16_e32 v45, 0x3770, v74
	v_mul_f16_e32 v51, 0x3a95, v74
	;; [unrolled: 1-line block ×4, first 2 shown]
	v_add_f16_e32 v39, v39, v50
	v_bfi_b32 v50, 0xffff, v47, v65
	v_pk_fma_f16 v6, 0xb5acbb7b, v9, v6 neg_lo:[0,1,0] neg_hi:[0,1,0]
	v_add_f16_e32 v15, v15, v41
	v_bfi_b32 v9, 0xffff, v37, v42
	v_pk_add_f16 v49, v37, v3
	v_add_f16_e32 v3, v71, v10
	v_add_f16_e32 v10, v62, v21
	;; [unrolled: 1-line block ×4, first 2 shown]
	v_pack_b32_f16 v16, v74, v75
	v_pk_mul_f16 v21, 0x3bf12fb7, v5
	v_mul_f16_e32 v29, 0x3770, v27
	v_add_f16_e32 v28, v28, v36
	s_load_b64 s[8:9], s[12:13], 0x0
	v_fma_f16 v64, v24, 0x388b, -v64
	v_fmamk_f16 v67, v24, 0xbbc4, v52
	v_fma_f16 v52, v24, 0xbbc4, -v52
	v_fma_f16 v36, v22, 0x3b15, -v45
	v_fmac_f16_e32 v45, 0x3b15, v22
	v_fmac_f16_e32 v66, 0xb9fd, v22
	v_fma_f16 v48, v22, 0x388b, -v51
	v_fmac_f16_e32 v51, 0x388b, v22
	v_fma_f16 v31, v22, 0xb5ac, -v92
	v_mul_f16_e32 v27, 0x3a95, v27
	v_fmamk_f16 v79, v75, 0xb9fd, v4
	v_fmac_f16_e32 v92, 0xb5ac, v22
	v_pk_add_f16 v2, v50, v2
	v_add_f16_e32 v24, v68, v44
	v_add_f16_e32 v40, v63, v46
	;; [unrolled: 1-line block ×3, first 2 shown]
	v_pk_fma_f16 v15, 0x2fb73bf1, v16, v21
	v_pk_fma_f16 v22, 0x2fb73bf1, v16, v21 neg_lo:[0,0,1] neg_hi:[0,0,1]
	v_fmamk_f16 v83, v75, 0x3b15, v29
	v_add_f16_e32 v28, v87, v28
	v_add_f16_e32 v53, v90, v59
	;; [unrolled: 1-line block ×3, first 2 shown]
	v_fma_f16 v93, v75, 0xb9fd, -v4
	v_fmamk_f16 v84, v75, 0x388b, v27
	v_mad_u32_u24 v4, 0x1d4, v19, 0
	v_add_f16_e32 v39, v67, v39
	v_pk_add_f16 v47, v6, v7
	v_pk_add_f16 v50, v9, v2
	v_add_f16_e32 v2, v72, v8
	v_add_f16_e32 v42, v79, v40
	;; [unrolled: 1-line block ×3, first 2 shown]
	v_pk_fma_f16 v13, 0x2fb73bf1, v16, v21 neg_lo:[0,1,0] neg_hi:[0,1,0]
	v_bfi_b32 v14, 0xffff, v15, v22
	v_add_f16_e32 v9, v36, v11
	v_add_f16_e32 v41, v83, v24
	v_fma_f16 v27, v75, 0x388b, -v27
	v_add_f16_e32 v28, v52, v28
	v_add_f16_e32 v46, v54, v53
	v_fma_f16 v29, v75, 0x3b15, -v29
	v_add_f16_e32 v30, v64, v30
	v_lshl_add_u32 v80, v18, 2, v4
	v_add_f16_e32 v8, v45, v12
	v_add_f16_e32 v11, v48, v26
	;; [unrolled: 1-line block ×4, first 2 shown]
	v_pk_add_f16 v16, v15, v49
	v_pack_b32_f16 v15, v2, v37
	v_pk_add_f16 v13, v13, v47
	v_pk_add_f16 v14, v14, v50
	v_pack_b32_f16 v21, v9, v41
	v_pack_b32_f16 v22, v10, v42
	v_add_f16_e32 v6, v51, v32
	v_add_f16_e32 v39, v27, v28
	;; [unrolled: 1-line block ×6, first 2 shown]
	v_lshrrev_b32_e32 v45, 16, v16
	ds_store_2addr_b32 v80, v76, v15 offset1:9
	ds_store_2addr_b32 v80, v21, v22 offset0:18 offset1:27
	v_pack_b32_f16 v15, v11, v43
	v_pack_b32_f16 v21, v12, v44
	v_bfi_b32 v16, 0xffff, v13, v16
	v_cmp_gt_u32_e64 s0, 0x75, v0
	v_lshrrev_b32_e32 v49, 16, v14
	v_pack_b32_f16 v22, v5, v40
	v_pack_b32_f16 v23, v6, v39
	;; [unrolled: 1-line block ×5, first 2 shown]
	ds_store_2addr_b32 v80, v15, v21 offset0:36 offset1:45
	ds_store_2addr_b32 v80, v16, v14 offset0:54 offset1:63
	ds_store_2addr_b32 v80, v22, v23 offset0:72 offset1:81
	ds_store_2addr_b32 v80, v24, v25 offset0:90 offset1:99
	ds_store_b32 v80, v26 offset:432
	global_wb scope:SCOPE_SE
	s_wait_dscnt 0x0
	s_wait_kmcnt 0x0
	s_barrier_signal -1
	s_barrier_wait -1
	global_inv scope:SCOPE_SE
                                        ; implicit-def: $vgpr46
                                        ; implicit-def: $vgpr47
                                        ; implicit-def: $vgpr15
                                        ; implicit-def: $vgpr48
	s_and_saveexec_b32 s1, s0
	s_cbranch_execz .LBB0_40
; %bb.39:
	v_mul_i32_i24_e32 v0, 0xfffffe50, v19
	v_lshlrev_b32_e32 v1, 2, v18
	s_delay_alu instid0(VALU_DEP_1) | instskip(NEXT) | instid1(VALU_DEP_1)
	v_add3_u32 v0, v4, v0, v1
	v_add_nc_u32_e32 v3, 0xe00, v0
	v_add_nc_u32_e32 v4, 0x1200, v0
	;; [unrolled: 1-line block ×6, first 2 shown]
	ds_load_2addr_b32 v[1:2], v0 offset1:117
	v_add_nc_u32_e32 v0, 0xa00, v0
	ds_load_2addr_b32 v[5:6], v3 offset0:40 offset1:157
	ds_load_2addr_b32 v[7:8], v4 offset0:18 offset1:135
	;; [unrolled: 1-line block ×7, first 2 shown]
	s_wait_dscnt 0x7
	v_lshrrev_b32_e32 v20, 16, v1
	v_lshrrev_b32_e32 v37, 16, v2
	s_wait_dscnt 0x6
	v_lshrrev_b32_e32 v40, 16, v5
	v_lshrrev_b32_e32 v39, 16, v6
	;; [unrolled: 3-line block ×8, first 2 shown]
.LBB0_40:
	s_wait_alu 0xfffe
	s_or_b32 exec_lo, exec_lo, s1
	v_mul_lo_u16 v0, v19, 20
	v_add_nc_u32_e32 v33, 13, v19
	v_add_nc_u32_e32 v34, 26, v19
	;; [unrolled: 1-line block ×4, first 2 shown]
	v_lshrrev_b16 v0, 8, v0
	v_add_nc_u32_e32 v29, 0x41, v19
	v_add_nc_u32_e32 v30, 0x4e, v19
	;; [unrolled: 1-line block ×4, first 2 shown]
	v_mul_lo_u16 v0, v0, 13
	v_add_nc_u32_e32 v26, 0x75, v19
	v_add_nc_u32_e32 v25, 0x82, v19
	;; [unrolled: 1-line block ×4, first 2 shown]
	v_sub_nc_u16 v0, v19, v0
	v_add_nc_u32_e32 v23, 0xa9, v19
	v_add_nc_u32_e32 v21, 0xb6, v19
	s_mul_u64 s[8:9], s[8:9], s[20:21]
	s_and_b32 s1, s0, s14
	v_mul_lo_u16 v0, v0, 15
	s_wait_alu 0xfffe
	s_add_nc_u64 s[8:9], s[8:9], s[16:17]
	s_delay_alu instid0(VALU_DEP_1) | instskip(NEXT) | instid1(VALU_DEP_1)
	v_and_b32_e32 v0, 0xff, v0
	v_lshlrev_b32_e32 v0, 2, v0
	s_clause 0x3
	global_load_b128 v[50:53], v0, s[18:19]
	global_load_b128 v[54:57], v0, s[18:19] offset:16
	global_load_b128 v[58:61], v0, s[18:19] offset:32
	global_load_b96 v[62:64], v0, s[18:19] offset:48
	v_add_nc_u32_e32 v0, 0xc3, v19
	s_wait_loadcnt 0x3
	v_lshrrev_b32_e32 v19, 16, v50
	v_lshrrev_b32_e32 v65, 16, v51
	v_lshrrev_b32_e32 v66, 16, v52
	v_lshrrev_b32_e32 v67, 16, v53
	s_wait_loadcnt 0x2
	v_lshrrev_b32_e32 v68, 16, v54
	v_lshrrev_b32_e32 v69, 16, v55
	v_lshrrev_b32_e32 v70, 16, v56
	v_lshrrev_b32_e32 v71, 16, v57
	;; [unrolled: 5-line block ×3, first 2 shown]
	s_wait_loadcnt 0x0
	v_lshrrev_b32_e32 v76, 16, v62
	v_lshrrev_b32_e32 v77, 16, v63
	;; [unrolled: 1-line block ×3, first 2 shown]
	v_mul_f16_e32 v79, v37, v19
	v_mul_f16_e32 v19, v2, v19
	;; [unrolled: 1-line block ×30, first 2 shown]
	v_fma_f16 v2, v2, v50, -v79
	v_fmac_f16_e32 v19, v37, v50
	v_fma_f16 v9, v9, v51, -v80
	v_fmac_f16_e32 v65, v41, v51
	;; [unrolled: 2-line block ×15, first 2 shown]
	v_sub_f16_e32 v5, v1, v5
	v_sub_f16_e32 v35, v20, v71
	;; [unrolled: 1-line block ×16, first 2 shown]
	v_fma_f16 v11, v11, 2.0, -v3
	v_fma_f16 v43, v67, 2.0, -v36
	;; [unrolled: 1-line block ×8, first 2 shown]
	v_sub_f16_e32 v36, v5, v36
	v_add_f16_e32 v3, v35, v3
	v_sub_f16_e32 v38, v7, v38
	v_add_f16_e32 v15, v37, v15
	;; [unrolled: 2-line block ×4, first 2 shown]
	v_fma_f16 v1, v1, 2.0, -v5
	v_fma_f16 v20, v20, 2.0, -v35
	;; [unrolled: 1-line block ×16, first 2 shown]
	v_fmamk_f16 v49, v38, 0x39a8, v36
	v_fmamk_f16 v50, v15, 0x39a8, v3
	v_sub_f16_e32 v11, v1, v11
	v_sub_f16_e32 v43, v20, v43
	;; [unrolled: 1-line block ×8, first 2 shown]
	v_fmamk_f16 v51, v42, 0x39a8, v40
	v_fmamk_f16 v52, v16, 0x39a8, v4
	;; [unrolled: 1-line block ×4, first 2 shown]
	v_fmac_f16_e32 v49, 0xb9a8, v15
	v_fmac_f16_e32 v50, 0x39a8, v38
	v_fmamk_f16 v15, v8, 0xb9a8, v6
	v_fmamk_f16 v38, v41, 0xb9a8, v39
	v_fma_f16 v1, v1, 2.0, -v11
	v_fma_f16 v20, v20, 2.0, -v43
	;; [unrolled: 1-line block ×8, first 2 shown]
	v_sub_f16_e32 v45, v11, v45
	v_add_f16_e32 v13, v43, v13
	v_sub_f16_e32 v48, v12, v48
	v_add_f16_e32 v14, v46, v14
	v_fmac_f16_e32 v51, 0xb9a8, v16
	v_fmac_f16_e32 v52, 0x39a8, v42
	;; [unrolled: 1-line block ×6, first 2 shown]
	v_sub_f16_e32 v9, v1, v9
	v_sub_f16_e32 v16, v20, v44
	v_fma_f16 v7, v11, 2.0, -v45
	v_fma_f16 v11, v43, 2.0, -v13
	v_fma_f16 v36, v36, 2.0, -v49
	v_fma_f16 v3, v3, 2.0, -v50
	v_sub_f16_e32 v10, v2, v10
	v_sub_f16_e32 v37, v19, v47
	v_fma_f16 v8, v12, 2.0, -v48
	v_fma_f16 v12, v46, 2.0, -v14
	;; [unrolled: 1-line block ×4, first 2 shown]
	v_fmamk_f16 v41, v48, 0x39a8, v45
	v_fmamk_f16 v42, v14, 0x39a8, v13
	;; [unrolled: 1-line block ×4, first 2 shown]
	v_fma_f16 v47, v5, 2.0, -v53
	v_fma_f16 v35, v35, 2.0, -v54
	;; [unrolled: 1-line block ×8, first 2 shown]
	v_fmamk_f16 v19, v8, 0xb9a8, v7
	v_fmamk_f16 v39, v12, 0xb9a8, v11
	;; [unrolled: 1-line block ×4, first 2 shown]
	v_sub_f16_e32 v37, v9, v37
	v_add_f16_e32 v10, v16, v10
	v_fmamk_f16 v57, v15, 0x361f, v53
	v_fmamk_f16 v58, v38, 0x361f, v54
	v_fmac_f16_e32 v41, 0xb9a8, v14
	v_fmac_f16_e32 v42, 0x39a8, v48
	;; [unrolled: 1-line block ×4, first 2 shown]
	v_fmamk_f16 v51, v5, 0xbb64, v47
	v_fmamk_f16 v52, v6, 0xbb64, v35
	v_sub_f16_e32 v14, v46, v1
	v_sub_f16_e32 v48, v20, v2
	v_fmac_f16_e32 v19, 0xb9a8, v12
	v_fmac_f16_e32 v39, 0x39a8, v8
	;; [unrolled: 1-line block ×4, first 2 shown]
	v_fma_f16 v4, v9, 2.0, -v37
	v_fma_f16 v8, v16, 2.0, -v10
	v_fmac_f16_e32 v57, 0xbb64, v38
	v_fmac_f16_e32 v58, 0x3b64, v15
	v_fma_f16 v9, v45, 2.0, -v41
	v_fma_f16 v13, v13, 2.0, -v42
	;; [unrolled: 1-line block ×4, first 2 shown]
	v_fmac_f16_e32 v51, 0xb61f, v6
	v_fmac_f16_e32 v52, 0x361f, v5
	v_perm_b32 v2, v10, v37, 0x5040100
	v_perm_b32 v1, v42, v41, 0x5040100
	v_fma_f16 v37, v46, 2.0, -v14
	v_fma_f16 v20, v20, 2.0, -v48
	v_fma_f16 v7, v7, 2.0, -v19
	v_fma_f16 v11, v11, 2.0, -v39
	v_fma_f16 v36, v36, 2.0, -v55
	v_fma_f16 v38, v3, 2.0, -v56
	v_fma_f16 v40, v53, 2.0, -v57
	v_fma_f16 v41, v54, 2.0, -v58
	v_perm_b32 v12, v8, v4, 0x5040100
	v_perm_b32 v10, v13, v9, 0x5040100
	;; [unrolled: 1-line block ×3, first 2 shown]
	v_fma_f16 v4, v47, 2.0, -v51
	v_fma_f16 v16, v35, 2.0, -v52
	v_perm_b32 v8, v48, v14, 0x5040100
	v_perm_b32 v6, v39, v19, 0x5040100
	;; [unrolled: 1-line block ×11, first 2 shown]
	s_and_saveexec_b32 s10, s1
	s_cbranch_execz .LBB0_42
; %bb.41:
	v_mad_co_u64_u32 v[19:20], null, s6, v18, 0
	v_mad_co_u64_u32 v[39:40], null, s4, v34, 0
	v_mad_co_u64_u32 v[35:36], null, s4, v17, 0
	v_mad_co_u64_u32 v[37:38], null, s4, v33, 0
	s_delay_alu instid0(VALU_DEP_4) | instskip(NEXT) | instid1(VALU_DEP_4)
	v_mad_co_u64_u32 v[41:42], null, s7, v18, v[20:21]
	v_mov_b32_e32 v20, v40
	s_wait_alu 0xfffe
	s_lshl_b64 s[12:13], s[8:9], 2
	s_delay_alu instid0(SALU_CYCLE_1) | instskip(NEXT) | instid1(VALU_DEP_3)
	s_add_nc_u64 s[12:13], s[2:3], s[12:13]
	v_mad_co_u64_u32 v[42:43], null, s5, v17, v[36:37]
	s_delay_alu instid0(VALU_DEP_4) | instskip(SKIP_2) | instid1(VALU_DEP_4)
	v_mad_co_u64_u32 v[43:44], null, s5, v33, v[38:39]
	v_mad_co_u64_u32 v[44:45], null, s5, v34, v[20:21]
	v_mov_b32_e32 v20, v41
	v_mov_b32_e32 v36, v42
	v_mad_co_u64_u32 v[41:42], null, s4, v32, 0
	s_delay_alu instid0(VALU_DEP_3) | instskip(SKIP_1) | instid1(VALU_DEP_4)
	v_lshlrev_b64_e32 v[19:20], 2, v[19:20]
	v_mov_b32_e32 v38, v43
	v_lshlrev_b64_e32 v[35:36], 2, v[35:36]
	v_mov_b32_e32 v40, v44
	v_mad_co_u64_u32 v[43:44], null, s4, v30, 0
	v_add_co_u32 v47, s1, s12, v19
	s_wait_alu 0xf1ff
	v_add_co_ci_u32_e64 v48, s1, s13, v20, s1
	v_lshlrev_b64_e32 v[19:20], 2, v[37:38]
	s_delay_alu instid0(VALU_DEP_3) | instskip(SKIP_1) | instid1(VALU_DEP_3)
	v_add_co_u32 v35, s1, v47, v35
	s_wait_alu 0xf1ff
	v_add_co_ci_u32_e64 v36, s1, v48, v36, s1
	v_mad_co_u64_u32 v[37:38], null, s4, v31, 0
	s_delay_alu instid0(VALU_DEP_4)
	v_add_co_u32 v19, s1, v47, v19
	s_wait_alu 0xf1ff
	v_add_co_ci_u32_e64 v20, s1, v48, v20, s1
	global_store_b32 v[35:36], v15, off
	v_lshlrev_b64_e32 v[35:36], 2, v[39:40]
	global_store_b32 v[19:20], v16, off
	v_dual_mov_b32 v19, v38 :: v_dual_mov_b32 v20, v42
	v_add_co_u32 v35, s1, v47, v35
	s_wait_alu 0xf1ff
	v_add_co_ci_u32_e64 v36, s1, v48, v36, s1
	s_delay_alu instid0(VALU_DEP_3)
	v_mad_co_u64_u32 v[38:39], null, s5, v31, v[19:20]
	v_mad_co_u64_u32 v[19:20], null, s5, v32, v[20:21]
	;; [unrolled: 1-line block ×3, first 2 shown]
	global_store_b32 v[35:36], v14, off
	v_mov_b32_e32 v20, v44
	v_lshlrev_b64_e32 v[35:36], 2, v[37:38]
	v_dual_mov_b32 v42, v19 :: v_dual_mov_b32 v19, v40
	s_delay_alu instid0(VALU_DEP_2) | instskip(NEXT) | instid1(VALU_DEP_2)
	v_add_co_u32 v35, s1, v47, v35
	v_lshlrev_b64_e32 v[37:38], 2, v[41:42]
	s_delay_alu instid0(VALU_DEP_3) | instskip(SKIP_3) | instid1(VALU_DEP_4)
	v_mad_co_u64_u32 v[40:41], null, s5, v29, v[19:20]
	v_mad_co_u64_u32 v[19:20], null, s5, v30, v[20:21]
	s_wait_alu 0xf1ff
	v_add_co_ci_u32_e64 v36, s1, v48, v36, s1
	v_add_co_u32 v37, s1, v47, v37
	s_wait_alu 0xf1ff
	v_add_co_ci_u32_e64 v38, s1, v48, v38, s1
	s_delay_alu instid0(VALU_DEP_4)
	v_mov_b32_e32 v44, v19
	v_mad_co_u64_u32 v[19:20], null, s4, v28, 0
	s_clause 0x1
	global_store_b32 v[35:36], v13, off
	global_store_b32 v[37:38], v12, off
	v_lshlrev_b64_e32 v[35:36], 2, v[39:40]
	v_mad_co_u64_u32 v[39:40], null, s4, v27, 0
	v_lshlrev_b64_e32 v[37:38], 2, v[43:44]
	v_mad_co_u64_u32 v[41:42], null, s5, v28, v[20:21]
	s_delay_alu instid0(VALU_DEP_4) | instskip(NEXT) | instid1(VALU_DEP_4)
	v_add_co_u32 v35, s1, v47, v35
	v_mov_b32_e32 v20, v40
	s_wait_alu 0xf1ff
	v_add_co_ci_u32_e64 v36, s1, v48, v36, s1
	v_add_co_u32 v37, s1, v47, v37
	s_delay_alu instid0(VALU_DEP_3)
	v_mad_co_u64_u32 v[42:43], null, s5, v27, v[20:21]
	v_mad_co_u64_u32 v[43:44], null, s4, v26, 0
	s_wait_alu 0xf1ff
	v_add_co_ci_u32_e64 v38, s1, v48, v38, s1
	v_mov_b32_e32 v20, v41
	s_clause 0x1
	global_store_b32 v[35:36], v11, off
	global_store_b32 v[37:38], v10, off
	v_mad_co_u64_u32 v[36:37], null, s4, v25, 0
	v_dual_mov_b32 v40, v42 :: v_dual_mov_b32 v35, v44
	v_lshlrev_b64_e32 v[19:20], 2, v[19:20]
	s_delay_alu instid0(VALU_DEP_2) | instskip(NEXT) | instid1(VALU_DEP_3)
	v_lshlrev_b64_e32 v[38:39], 2, v[39:40]
	v_mad_co_u64_u32 v[40:41], null, s5, v26, v[35:36]
	s_delay_alu instid0(VALU_DEP_3)
	v_add_co_u32 v19, s1, v47, v19
	v_mov_b32_e32 v35, v37
	s_wait_alu 0xf1ff
	v_add_co_ci_u32_e64 v20, s1, v48, v20, s1
	v_add_co_u32 v37, s1, v47, v38
	s_wait_alu 0xf1ff
	v_add_co_ci_u32_e64 v38, s1, v48, v39, s1
	v_mov_b32_e32 v44, v40
	v_mad_co_u64_u32 v[39:40], null, s5, v25, v[35:36]
	v_mad_co_u64_u32 v[40:41], null, s4, v24, 0
	s_clause 0x1
	global_store_b32 v[19:20], v9, off
	global_store_b32 v[37:38], v8, off
	v_lshlrev_b64_e32 v[19:20], 2, v[43:44]
	v_mad_co_u64_u32 v[42:43], null, s4, v22, 0
	v_mov_b32_e32 v37, v39
	v_mov_b32_e32 v35, v41
	s_delay_alu instid0(VALU_DEP_4) | instskip(NEXT) | instid1(VALU_DEP_3)
	v_add_co_u32 v19, s1, v47, v19
	v_lshlrev_b64_e32 v[36:37], 2, v[36:37]
	s_wait_alu 0xf1ff
	v_add_co_ci_u32_e64 v20, s1, v48, v20, s1
	s_delay_alu instid0(VALU_DEP_2)
	v_mad_co_u64_u32 v[38:39], null, s5, v24, v[35:36]
	v_add_co_u32 v35, s1, v47, v36
	s_wait_alu 0xf1ff
	v_add_co_ci_u32_e64 v36, s1, v48, v37, s1
	global_store_b32 v[19:20], v7, off
	v_mad_co_u64_u32 v[19:20], null, s4, v23, 0
	global_store_b32 v[35:36], v6, off
	v_mad_co_u64_u32 v[36:37], null, s4, v21, 0
	v_mov_b32_e32 v41, v38
	v_mov_b32_e32 v35, v43
	v_mad_co_u64_u32 v[44:45], null, s5, v23, v[20:21]
	s_delay_alu instid0(VALU_DEP_3) | instskip(NEXT) | instid1(VALU_DEP_3)
	v_lshlrev_b64_e32 v[38:39], 2, v[40:41]
	v_mad_co_u64_u32 v[40:41], null, s5, v22, v[35:36]
	v_mad_co_u64_u32 v[45:46], null, s4, v0, 0
	v_mov_b32_e32 v35, v37
	s_delay_alu instid0(VALU_DEP_4)
	v_add_co_u32 v37, s1, v47, v38
	s_wait_alu 0xf1ff
	v_add_co_ci_u32_e64 v38, s1, v48, v39, s1
	v_mov_b32_e32 v43, v40
	v_mad_co_u64_u32 v[39:40], null, s5, v21, v[35:36]
	v_dual_mov_b32 v35, v46 :: v_dual_mov_b32 v20, v44
	s_delay_alu instid0(VALU_DEP_3)
	v_lshlrev_b64_e32 v[40:41], 2, v[42:43]
	global_store_b32 v[37:38], v5, off
	v_mad_co_u64_u32 v[42:43], null, s5, v0, v[35:36]
	v_mov_b32_e32 v37, v39
	v_lshlrev_b64_e32 v[19:20], 2, v[19:20]
	v_add_co_u32 v38, s1, v47, v40
	s_wait_alu 0xf1ff
	v_add_co_ci_u32_e64 v39, s1, v48, v41, s1
	v_mov_b32_e32 v46, v42
	v_lshlrev_b64_e32 v[35:36], 2, v[36:37]
	v_add_co_u32 v19, s1, v47, v19
	s_wait_alu 0xf1ff
	v_add_co_ci_u32_e64 v20, s1, v48, v20, s1
	v_lshlrev_b64_e32 v[40:41], 2, v[45:46]
	s_delay_alu instid0(VALU_DEP_4) | instskip(SKIP_2) | instid1(VALU_DEP_3)
	v_add_co_u32 v35, s1, v47, v35
	s_wait_alu 0xf1ff
	v_add_co_ci_u32_e64 v36, s1, v48, v36, s1
	v_add_co_u32 v40, s1, v47, v40
	s_wait_alu 0xf1ff
	v_add_co_ci_u32_e64 v41, s1, v48, v41, s1
	s_clause 0x3
	global_store_b32 v[38:39], v2, off
	global_store_b32 v[19:20], v3, off
	;; [unrolled: 1-line block ×4, first 2 shown]
.LBB0_42:
	s_wait_alu 0xfffe
	s_or_b32 exec_lo, exec_lo, s10
	s_xor_b32 s1, s14, -1
	s_and_b32 s0, s0, vcc_lo
	s_wait_alu 0xfffe
	s_and_b32 s0, s1, s0
	s_wait_alu 0xfffe
	s_and_saveexec_b32 s1, s0
	s_cbranch_execz .LBB0_44
; %bb.43:
	v_mad_co_u64_u32 v[19:20], null, s6, v18, 0
	v_mad_co_u64_u32 v[35:36], null, s4, v17, 0
	;; [unrolled: 1-line block ×4, first 2 shown]
	s_delay_alu instid0(VALU_DEP_4) | instskip(SKIP_1) | instid1(VALU_DEP_3)
	v_mad_co_u64_u32 v[41:42], null, s7, v18, v[20:21]
	s_lshl_b64 s[0:1], s[8:9], 2
	v_mad_co_u64_u32 v[42:43], null, s5, v17, v[36:37]
	s_delay_alu instid0(VALU_DEP_3) | instskip(NEXT) | instid1(VALU_DEP_4)
	v_mov_b32_e32 v18, v40
	v_mad_co_u64_u32 v[43:44], null, s5, v33, v[38:39]
	s_delay_alu instid0(VALU_DEP_4)
	v_mov_b32_e32 v20, v41
	s_wait_alu 0xfffe
	s_add_nc_u64 s[0:1], s[2:3], s[0:1]
	v_mad_co_u64_u32 v[17:18], null, s5, v34, v[18:19]
	v_mov_b32_e32 v36, v42
	v_lshlrev_b64_e32 v[18:19], 2, v[19:20]
	v_mov_b32_e32 v38, v43
	s_delay_alu instid0(VALU_DEP_3) | instskip(SKIP_2) | instid1(VALU_DEP_4)
	v_lshlrev_b64_e32 v[33:34], 2, v[35:36]
	v_mov_b32_e32 v40, v17
	s_wait_alu 0xfffe
	v_add_co_u32 v41, vcc_lo, s0, v18
	v_add_co_ci_u32_e32 v42, vcc_lo, s1, v19, vcc_lo
	v_lshlrev_b64_e32 v[17:18], 2, v[37:38]
	s_delay_alu instid0(VALU_DEP_3) | instskip(SKIP_1) | instid1(VALU_DEP_3)
	v_add_co_u32 v19, vcc_lo, v41, v33
	s_wait_alu 0xfffd
	v_add_co_ci_u32_e32 v20, vcc_lo, v42, v34, vcc_lo
	v_mad_co_u64_u32 v[33:34], null, s4, v31, 0
	v_mad_co_u64_u32 v[35:36], null, s4, v32, 0
	v_add_co_u32 v17, vcc_lo, v41, v17
	global_store_b32 v[19:20], v15, off
	v_lshlrev_b64_e32 v[19:20], 2, v[39:40]
	s_wait_alu 0xfffd
	v_add_co_ci_u32_e32 v18, vcc_lo, v42, v18, vcc_lo
	v_mov_b32_e32 v15, v34
	v_mad_co_u64_u32 v[37:38], null, s4, v30, 0
	global_store_b32 v[17:18], v16, off
	v_mov_b32_e32 v16, v36
	v_add_co_u32 v17, vcc_lo, v41, v19
	s_wait_alu 0xfffd
	v_add_co_ci_u32_e32 v18, vcc_lo, v42, v20, vcc_lo
	s_delay_alu instid0(VALU_DEP_3) | instskip(NEXT) | instid1(VALU_DEP_3)
	v_mad_co_u64_u32 v[19:20], null, s5, v31, v[15:16]
	v_mad_co_u64_u32 v[15:16], null, s5, v32, v[16:17]
	;; [unrolled: 1-line block ×3, first 2 shown]
	global_store_b32 v[17:18], v14, off
	v_dual_mov_b32 v17, v38 :: v_dual_mov_b32 v34, v19
	v_mov_b32_e32 v36, v15
	v_mov_b32_e32 v14, v32
	s_delay_alu instid0(VALU_DEP_3) | instskip(NEXT) | instid1(VALU_DEP_3)
	v_lshlrev_b64_e32 v[15:16], 2, v[33:34]
	v_lshlrev_b64_e32 v[18:19], 2, v[35:36]
	s_delay_alu instid0(VALU_DEP_2) | instskip(NEXT) | instid1(VALU_DEP_2)
	v_mad_co_u64_u32 v[32:33], null, s5, v29, v[14:15]
	v_mad_co_u64_u32 v[29:30], null, s5, v30, v[17:18]
	v_add_co_u32 v14, vcc_lo, v41, v15
	s_wait_alu 0xfffd
	v_add_co_ci_u32_e32 v15, vcc_lo, v42, v16, vcc_lo
	v_add_co_u32 v16, vcc_lo, v41, v18
	s_wait_alu 0xfffd
	v_add_co_ci_u32_e32 v17, vcc_lo, v42, v19, vcc_lo
	v_mov_b32_e32 v38, v29
	s_clause 0x1
	global_store_b32 v[14:15], v13, off
	global_store_b32 v[16:17], v12, off
	v_lshlrev_b64_e32 v[12:13], 2, v[31:32]
	v_mad_co_u64_u32 v[18:19], null, s4, v28, 0
	v_mad_co_u64_u32 v[16:17], null, s4, v27, 0
	v_lshlrev_b64_e32 v[14:15], 2, v[37:38]
	s_delay_alu instid0(VALU_DEP_4) | instskip(SKIP_3) | instid1(VALU_DEP_4)
	v_add_co_u32 v12, vcc_lo, v41, v12
	s_wait_alu 0xfffd
	v_add_co_ci_u32_e32 v13, vcc_lo, v42, v13, vcc_lo
	v_mad_co_u64_u32 v[19:20], null, s5, v28, v[19:20]
	v_add_co_u32 v14, vcc_lo, v41, v14
	v_mad_co_u64_u32 v[27:28], null, s5, v27, v[17:18]
	v_mad_co_u64_u32 v[28:29], null, s4, v26, 0
	s_wait_alu 0xfffd
	v_add_co_ci_u32_e32 v15, vcc_lo, v42, v15, vcc_lo
	s_clause 0x1
	global_store_b32 v[12:13], v11, off
	global_store_b32 v[14:15], v10, off
	v_mad_co_u64_u32 v[13:14], null, s4, v25, 0
	v_dual_mov_b32 v17, v27 :: v_dual_mov_b32 v12, v29
	v_lshlrev_b64_e32 v[10:11], 2, v[18:19]
	s_delay_alu instid0(VALU_DEP_2) | instskip(NEXT) | instid1(VALU_DEP_3)
	v_lshlrev_b64_e32 v[15:16], 2, v[16:17]
	v_mad_co_u64_u32 v[17:18], null, s5, v26, v[12:13]
	s_delay_alu instid0(VALU_DEP_3)
	v_add_co_u32 v10, vcc_lo, v41, v10
	v_mov_b32_e32 v12, v14
	s_wait_alu 0xfffd
	v_add_co_ci_u32_e32 v11, vcc_lo, v42, v11, vcc_lo
	v_add_co_u32 v14, vcc_lo, v41, v15
	s_wait_alu 0xfffd
	v_add_co_ci_u32_e32 v15, vcc_lo, v42, v16, vcc_lo
	v_mov_b32_e32 v29, v17
	v_mad_co_u64_u32 v[16:17], null, s5, v25, v[12:13]
	v_mad_co_u64_u32 v[17:18], null, s4, v24, 0
	global_store_b32 v[10:11], v9, off
	v_lshlrev_b64_e32 v[9:10], 2, v[28:29]
	global_store_b32 v[14:15], v8, off
	v_mov_b32_e32 v14, v16
	v_mov_b32_e32 v8, v18
	v_add_co_u32 v9, vcc_lo, v41, v9
	s_delay_alu instid0(VALU_DEP_3) | instskip(SKIP_2) | instid1(VALU_DEP_3)
	v_lshlrev_b64_e32 v[11:12], 2, v[13:14]
	s_wait_alu 0xfffd
	v_add_co_ci_u32_e32 v10, vcc_lo, v42, v10, vcc_lo
	v_mad_co_u64_u32 v[13:14], null, s5, v24, v[8:9]
	v_mad_co_u64_u32 v[14:15], null, s4, v22, 0
	s_delay_alu instid0(VALU_DEP_4)
	v_add_co_u32 v11, vcc_lo, v41, v11
	s_wait_alu 0xfffd
	v_add_co_ci_u32_e32 v12, vcc_lo, v42, v12, vcc_lo
	global_store_b32 v[9:10], v7, off
	v_mad_co_u64_u32 v[7:8], null, s4, v23, 0
	v_mad_co_u64_u32 v[9:10], null, s4, v21, 0
	global_store_b32 v[11:12], v6, off
	v_mov_b32_e32 v6, v15
	v_mov_b32_e32 v18, v13
	s_delay_alu instid0(VALU_DEP_2) | instskip(NEXT) | instid1(VALU_DEP_2)
	v_mad_co_u64_u32 v[15:16], null, s5, v22, v[6:7]
	v_lshlrev_b64_e32 v[11:12], 2, v[17:18]
	v_mad_co_u64_u32 v[16:17], null, s5, v23, v[8:9]
	v_mad_co_u64_u32 v[17:18], null, s4, v0, 0
	v_mov_b32_e32 v6, v10
	s_delay_alu instid0(VALU_DEP_4)
	v_add_co_u32 v10, vcc_lo, v41, v11
	s_wait_alu 0xfffd
	v_add_co_ci_u32_e32 v11, vcc_lo, v42, v12, vcc_lo
	v_mov_b32_e32 v8, v16
	v_mad_co_u64_u32 v[12:13], null, s5, v21, v[6:7]
	global_store_b32 v[10:11], v5, off
	v_mov_b32_e32 v5, v18
	v_lshlrev_b64_e32 v[6:7], 2, v[7:8]
	v_lshlrev_b64_e32 v[13:14], 2, v[14:15]
	v_mov_b32_e32 v10, v12
	s_delay_alu instid0(VALU_DEP_3) | instskip(NEXT) | instid1(VALU_DEP_3)
	v_mad_co_u64_u32 v[15:16], null, s5, v0, v[5:6]
	v_add_co_u32 v11, vcc_lo, v41, v13
	s_delay_alu instid0(VALU_DEP_3)
	v_lshlrev_b64_e32 v[8:9], 2, v[9:10]
	s_wait_alu 0xfffd
	v_add_co_ci_u32_e32 v12, vcc_lo, v42, v14, vcc_lo
	v_add_co_u32 v5, vcc_lo, v41, v6
	v_mov_b32_e32 v18, v15
	s_wait_alu 0xfffd
	v_add_co_ci_u32_e32 v6, vcc_lo, v42, v7, vcc_lo
	v_add_co_u32 v7, vcc_lo, v41, v8
	s_delay_alu instid0(VALU_DEP_3) | instskip(SKIP_2) | instid1(VALU_DEP_2)
	v_lshlrev_b64_e32 v[13:14], 2, v[17:18]
	s_wait_alu 0xfffd
	v_add_co_ci_u32_e32 v8, vcc_lo, v42, v9, vcc_lo
	v_add_co_u32 v9, vcc_lo, v41, v13
	s_wait_alu 0xfffd
	s_delay_alu instid0(VALU_DEP_3)
	v_add_co_ci_u32_e32 v10, vcc_lo, v42, v14, vcc_lo
	s_clause 0x3
	global_store_b32 v[11:12], v2, off
	global_store_b32 v[5:6], v3, off
	;; [unrolled: 1-line block ×4, first 2 shown]
.LBB0_44:
	s_nop 0
	s_sendmsg sendmsg(MSG_DEALLOC_VGPRS)
	s_endpgm
	.section	.rodata,"a",@progbits
	.p2align	6, 0x0
	.amdhsa_kernel fft_rtc_fwd_len208_factors_13_16_wgs_144_tpt_16_half_op_CI_CI_sbcc_dirReg_intrinsicRead
		.amdhsa_group_segment_fixed_size 0
		.amdhsa_private_segment_fixed_size 0
		.amdhsa_kernarg_size 112
		.amdhsa_user_sgpr_count 2
		.amdhsa_user_sgpr_dispatch_ptr 0
		.amdhsa_user_sgpr_queue_ptr 0
		.amdhsa_user_sgpr_kernarg_segment_ptr 1
		.amdhsa_user_sgpr_dispatch_id 0
		.amdhsa_user_sgpr_private_segment_size 0
		.amdhsa_wavefront_size32 1
		.amdhsa_uses_dynamic_stack 0
		.amdhsa_enable_private_segment 0
		.amdhsa_system_sgpr_workgroup_id_x 1
		.amdhsa_system_sgpr_workgroup_id_y 0
		.amdhsa_system_sgpr_workgroup_id_z 0
		.amdhsa_system_sgpr_workgroup_info 0
		.amdhsa_system_vgpr_workitem_id 0
		.amdhsa_next_free_vgpr 94
		.amdhsa_next_free_sgpr 60
		.amdhsa_reserve_vcc 1
		.amdhsa_float_round_mode_32 0
		.amdhsa_float_round_mode_16_64 0
		.amdhsa_float_denorm_mode_32 3
		.amdhsa_float_denorm_mode_16_64 3
		.amdhsa_fp16_overflow 0
		.amdhsa_workgroup_processor_mode 1
		.amdhsa_memory_ordered 1
		.amdhsa_forward_progress 0
		.amdhsa_round_robin_scheduling 0
		.amdhsa_exception_fp_ieee_invalid_op 0
		.amdhsa_exception_fp_denorm_src 0
		.amdhsa_exception_fp_ieee_div_zero 0
		.amdhsa_exception_fp_ieee_overflow 0
		.amdhsa_exception_fp_ieee_underflow 0
		.amdhsa_exception_fp_ieee_inexact 0
		.amdhsa_exception_int_div_zero 0
	.end_amdhsa_kernel
	.text
.Lfunc_end0:
	.size	fft_rtc_fwd_len208_factors_13_16_wgs_144_tpt_16_half_op_CI_CI_sbcc_dirReg_intrinsicRead, .Lfunc_end0-fft_rtc_fwd_len208_factors_13_16_wgs_144_tpt_16_half_op_CI_CI_sbcc_dirReg_intrinsicRead
                                        ; -- End function
	.section	.AMDGPU.csdata,"",@progbits
; Kernel info:
; codeLenInByte = 10540
; NumSgprs: 62
; NumVgprs: 94
; ScratchSize: 0
; MemoryBound: 0
; FloatMode: 240
; IeeeMode: 1
; LDSByteSize: 0 bytes/workgroup (compile time only)
; SGPRBlocks: 7
; VGPRBlocks: 11
; NumSGPRsForWavesPerEU: 62
; NumVGPRsForWavesPerEU: 94
; Occupancy: 15
; WaveLimiterHint : 1
; COMPUTE_PGM_RSRC2:SCRATCH_EN: 0
; COMPUTE_PGM_RSRC2:USER_SGPR: 2
; COMPUTE_PGM_RSRC2:TRAP_HANDLER: 0
; COMPUTE_PGM_RSRC2:TGID_X_EN: 1
; COMPUTE_PGM_RSRC2:TGID_Y_EN: 0
; COMPUTE_PGM_RSRC2:TGID_Z_EN: 0
; COMPUTE_PGM_RSRC2:TIDIG_COMP_CNT: 0
	.text
	.p2alignl 7, 3214868480
	.fill 96, 4, 3214868480
	.type	__hip_cuid_4640a0fb906c483a,@object ; @__hip_cuid_4640a0fb906c483a
	.section	.bss,"aw",@nobits
	.globl	__hip_cuid_4640a0fb906c483a
__hip_cuid_4640a0fb906c483a:
	.byte	0                               ; 0x0
	.size	__hip_cuid_4640a0fb906c483a, 1

	.ident	"AMD clang version 19.0.0git (https://github.com/RadeonOpenCompute/llvm-project roc-6.4.0 25133 c7fe45cf4b819c5991fe208aaa96edf142730f1d)"
	.section	".note.GNU-stack","",@progbits
	.addrsig
	.addrsig_sym __hip_cuid_4640a0fb906c483a
	.amdgpu_metadata
---
amdhsa.kernels:
  - .args:
      - .actual_access:  read_only
        .address_space:  global
        .offset:         0
        .size:           8
        .value_kind:     global_buffer
      - .address_space:  global
        .offset:         8
        .size:           8
        .value_kind:     global_buffer
      - .offset:         16
        .size:           8
        .value_kind:     by_value
      - .actual_access:  read_only
        .address_space:  global
        .offset:         24
        .size:           8
        .value_kind:     global_buffer
      - .actual_access:  read_only
        .address_space:  global
        .offset:         32
        .size:           8
        .value_kind:     global_buffer
      - .actual_access:  read_only
        .address_space:  global
        .offset:         40
        .size:           8
        .value_kind:     global_buffer
      - .offset:         48
        .size:           8
        .value_kind:     by_value
      - .actual_access:  read_only
        .address_space:  global
        .offset:         56
        .size:           8
        .value_kind:     global_buffer
      - .actual_access:  read_only
        .address_space:  global
        .offset:         64
        .size:           8
        .value_kind:     global_buffer
      - .offset:         72
        .size:           4
        .value_kind:     by_value
      - .actual_access:  read_only
        .address_space:  global
        .offset:         80
        .size:           8
        .value_kind:     global_buffer
      - .actual_access:  read_only
        .address_space:  global
        .offset:         88
        .size:           8
        .value_kind:     global_buffer
      - .actual_access:  read_only
        .address_space:  global
        .offset:         96
        .size:           8
        .value_kind:     global_buffer
      - .actual_access:  write_only
        .address_space:  global
        .offset:         104
        .size:           8
        .value_kind:     global_buffer
    .group_segment_fixed_size: 0
    .kernarg_segment_align: 8
    .kernarg_segment_size: 112
    .language:       OpenCL C
    .language_version:
      - 2
      - 0
    .max_flat_workgroup_size: 144
    .name:           fft_rtc_fwd_len208_factors_13_16_wgs_144_tpt_16_half_op_CI_CI_sbcc_dirReg_intrinsicRead
    .private_segment_fixed_size: 0
    .sgpr_count:     62
    .sgpr_spill_count: 0
    .symbol:         fft_rtc_fwd_len208_factors_13_16_wgs_144_tpt_16_half_op_CI_CI_sbcc_dirReg_intrinsicRead.kd
    .uniform_work_group_size: 1
    .uses_dynamic_stack: false
    .vgpr_count:     94
    .vgpr_spill_count: 0
    .wavefront_size: 32
    .workgroup_processor_mode: 1
amdhsa.target:   amdgcn-amd-amdhsa--gfx1201
amdhsa.version:
  - 1
  - 2
...

	.end_amdgpu_metadata
